;; amdgpu-corpus repo=ROCm/rocFFT kind=compiled arch=gfx906 opt=O3
	.text
	.amdgcn_target "amdgcn-amd-amdhsa--gfx906"
	.amdhsa_code_object_version 6
	.protected	fft_rtc_back_len336_factors_6_7_8_wgs_336_tpt_56_half_op_CI_CI_sbcr_C2R_dirReg_intrinsicReadWrite ; -- Begin function fft_rtc_back_len336_factors_6_7_8_wgs_336_tpt_56_half_op_CI_CI_sbcr_C2R_dirReg_intrinsicReadWrite
	.globl	fft_rtc_back_len336_factors_6_7_8_wgs_336_tpt_56_half_op_CI_CI_sbcr_C2R_dirReg_intrinsicReadWrite
	.p2align	8
	.type	fft_rtc_back_len336_factors_6_7_8_wgs_336_tpt_56_half_op_CI_CI_sbcr_C2R_dirReg_intrinsicReadWrite,@function
fft_rtc_back_len336_factors_6_7_8_wgs_336_tpt_56_half_op_CI_CI_sbcr_C2R_dirReg_intrinsicReadWrite: ; @fft_rtc_back_len336_factors_6_7_8_wgs_336_tpt_56_half_op_CI_CI_sbcr_C2R_dirReg_intrinsicReadWrite
; %bb.0:
	s_load_dwordx4 s[0:3], s[4:5], 0x10
	s_load_dwordx2 s[28:29], s[4:5], 0x20
	s_mov_b32 s7, 0
	s_mov_b64 s[26:27], 0
	s_waitcnt lgkmcnt(0)
	s_load_dwordx2 s[24:25], s[0:1], 0x8
	s_waitcnt lgkmcnt(0)
	s_add_u32 s8, s24, -1
	s_addc_u32 s9, s25, -1
	s_add_u32 s10, 0, 0xaaa80000
	s_addc_u32 s11, 0, 0xaa
	s_mul_hi_u32 s13, s10, -6
	s_add_i32 s11, s11, 0x2aaaaa00
	s_sub_i32 s13, s13, s10
	s_mul_i32 s16, s11, -6
	s_mul_i32 s12, s10, -6
	s_add_i32 s13, s13, s16
	s_mul_hi_u32 s14, s11, s12
	s_mul_i32 s15, s11, s12
	s_mul_i32 s17, s10, s13
	s_mul_hi_u32 s12, s10, s12
	s_mul_hi_u32 s16, s10, s13
	s_add_u32 s12, s12, s17
	s_addc_u32 s16, 0, s16
	s_add_u32 s12, s12, s15
	s_mul_hi_u32 s17, s11, s13
	s_addc_u32 s12, s16, s14
	s_addc_u32 s14, s17, 0
	s_mul_i32 s13, s11, s13
	s_add_u32 s12, s12, s13
	v_mov_b32_e32 v1, s12
	s_addc_u32 s13, 0, s14
	v_add_co_u32_e32 v1, vcc, s10, v1
	s_cmp_lg_u64 vcc, 0
	s_addc_u32 s10, s11, s13
	v_readfirstlane_b32 s13, v1
	s_mul_i32 s12, s8, s10
	s_mul_hi_u32 s14, s8, s13
	s_mul_hi_u32 s11, s8, s10
	s_add_u32 s12, s14, s12
	s_addc_u32 s11, 0, s11
	s_mul_hi_u32 s15, s9, s13
	s_mul_i32 s13, s9, s13
	s_add_u32 s12, s12, s13
	s_mul_hi_u32 s14, s9, s10
	s_addc_u32 s11, s11, s15
	s_addc_u32 s12, s14, 0
	s_mul_i32 s10, s9, s10
	s_add_u32 s10, s11, s10
	s_addc_u32 s11, 0, s12
	s_add_u32 s12, s10, 1
	s_addc_u32 s13, s11, 0
	s_add_u32 s14, s10, 2
	s_mul_i32 s16, s11, 6
	s_mul_hi_u32 s17, s10, 6
	s_addc_u32 s15, s11, 0
	s_add_i32 s17, s17, s16
	s_mul_i32 s16, s10, 6
	v_mov_b32_e32 v1, s16
	v_sub_co_u32_e32 v1, vcc, s8, v1
	s_cmp_lg_u64 vcc, 0
	s_subb_u32 s8, s9, s17
	v_subrev_co_u32_e32 v2, vcc, 6, v1
	s_cmp_lg_u64 vcc, 0
	s_subb_u32 s9, s8, 0
	v_readfirstlane_b32 s16, v2
	s_cmp_gt_u32 s16, 5
	s_cselect_b32 s16, -1, 0
	s_cmp_eq_u32 s9, 0
	s_cselect_b32 s9, s16, -1
	s_cmp_lg_u32 s9, 0
	s_cselect_b32 s9, s14, s12
	s_cselect_b32 s12, s15, s13
	v_readfirstlane_b32 s13, v1
	s_cmp_gt_u32 s13, 5
	s_cselect_b32 s13, -1, 0
	s_cmp_eq_u32 s8, 0
	s_cselect_b32 s8, s13, -1
	s_cmp_lg_u32 s8, 0
	s_cselect_b32 s9, s9, s10
	s_cselect_b32 s8, s12, s11
	s_add_u32 s30, s9, 1
	s_addc_u32 s31, s8, 0
	v_mov_b32_e32 v1, s30
	v_mov_b32_e32 v2, s31
	v_cmp_lt_u64_e32 vcc, s[6:7], v[1:2]
	s_cbranch_vccnz .LBB0_2
; %bb.1:
	v_cvt_f32_u32_e32 v1, s30
	s_sub_i32 s8, 0, s30
	s_mov_b32 s27, s7
	v_rcp_iflag_f32_e32 v1, v1
	v_mul_f32_e32 v1, 0x4f7ffffe, v1
	v_cvt_u32_f32_e32 v1, v1
	v_readfirstlane_b32 s9, v1
	s_mul_i32 s8, s8, s9
	s_mul_hi_u32 s8, s9, s8
	s_add_i32 s9, s9, s8
	s_mul_hi_u32 s8, s6, s9
	s_mul_i32 s10, s8, s30
	s_sub_i32 s10, s6, s10
	s_add_i32 s9, s8, 1
	s_sub_i32 s11, s10, s30
	s_cmp_ge_u32 s10, s30
	s_cselect_b32 s8, s9, s8
	s_cselect_b32 s10, s11, s10
	s_add_i32 s9, s8, 1
	s_cmp_ge_u32 s10, s30
	s_cselect_b32 s26, s9, s8
.LBB0_2:
	s_load_dwordx4 s[12:15], s[4:5], 0x58
	s_load_dwordx4 s[16:19], s[4:5], 0x0
	;; [unrolled: 1-line block ×4, first 2 shown]
	s_mul_i32 s4, s26, s31
	s_mul_hi_u32 s5, s26, s30
	s_add_i32 s5, s5, s4
	s_mul_i32 s4, s26, s30
	s_sub_u32 s46, s6, s4
	s_subb_u32 s4, 0, s5
	s_mul_i32 s4, s4, 6
	s_mul_hi_u32 s33, s46, 6
	s_add_i32 s33, s33, s4
	s_mul_i32 s46, s46, 6
	s_waitcnt lgkmcnt(0)
	s_mul_i32 s4, s22, s33
	s_mul_hi_u32 s5, s22, s46
	s_add_i32 s4, s5, s4
	s_mul_i32 s5, s23, s46
	s_add_i32 s49, s4, s5
	s_mul_i32 s4, s10, s33
	s_mul_hi_u32 s5, s10, s46
	s_add_i32 s4, s5, s4
	s_mul_i32 s5, s11, s46
	s_add_i32 s47, s4, s5
	v_cmp_lt_u64_e64 s[4:5], s[18:19], 3
	s_mul_i32 s50, s22, s46
	s_mul_i32 s48, s10, s46
	s_and_b64 vcc, exec, s[4:5]
	s_cbranch_vccnz .LBB0_12
; %bb.3:
	s_add_u32 s4, s28, 16
	s_addc_u32 s5, s29, 0
	s_add_u32 s34, s2, 16
	s_addc_u32 s35, s3, 0
	s_add_u32 s36, s0, 16
	v_mov_b32_e32 v1, s18
	s_addc_u32 s37, s1, 0
	s_mov_b64 s[38:39], 2
	s_mov_b32 s40, 0
	v_mov_b32_e32 v2, s19
.LBB0_4:                                ; =>This Inner Loop Header: Depth=1
	s_load_dwordx2 s[42:43], s[36:37], 0x0
	s_waitcnt lgkmcnt(0)
	s_or_b64 s[0:1], s[26:27], s[42:43]
	s_mov_b32 s41, s1
	s_cmp_lg_u64 s[40:41], 0
	s_cbranch_scc0 .LBB0_9
; %bb.5:                                ;   in Loop: Header=BB0_4 Depth=1
	v_cvt_f32_u32_e32 v3, s42
	v_cvt_f32_u32_e32 v4, s43
	s_sub_u32 s0, 0, s42
	s_subb_u32 s1, 0, s43
	v_mac_f32_e32 v3, 0x4f800000, v4
	v_rcp_f32_e32 v3, v3
	v_mul_f32_e32 v3, 0x5f7ffffc, v3
	v_mul_f32_e32 v4, 0x2f800000, v3
	v_trunc_f32_e32 v4, v4
	v_mac_f32_e32 v3, 0xcf800000, v4
	v_cvt_u32_f32_e32 v4, v4
	v_cvt_u32_f32_e32 v3, v3
	v_readfirstlane_b32 s41, v4
	v_readfirstlane_b32 s44, v3
	s_mul_i32 s45, s0, s41
	s_mul_hi_u32 s52, s0, s44
	s_mul_i32 s51, s1, s44
	s_add_i32 s45, s52, s45
	s_mul_i32 s53, s0, s44
	s_add_i32 s45, s45, s51
	s_mul_hi_u32 s51, s44, s45
	s_mul_i32 s52, s44, s45
	s_mul_hi_u32 s44, s44, s53
	s_add_u32 s44, s44, s52
	s_addc_u32 s51, 0, s51
	s_mul_hi_u32 s54, s41, s53
	s_mul_i32 s53, s41, s53
	s_add_u32 s44, s44, s53
	s_mul_hi_u32 s52, s41, s45
	s_addc_u32 s44, s51, s54
	s_addc_u32 s51, s52, 0
	s_mul_i32 s45, s41, s45
	s_add_u32 s44, s44, s45
	s_addc_u32 s45, 0, s51
	v_add_co_u32_e32 v3, vcc, s44, v3
	s_cmp_lg_u64 vcc, 0
	s_addc_u32 s41, s41, s45
	v_readfirstlane_b32 s45, v3
	s_mul_i32 s44, s0, s41
	s_mul_hi_u32 s51, s0, s45
	s_add_i32 s44, s51, s44
	s_mul_i32 s1, s1, s45
	s_add_i32 s44, s44, s1
	s_mul_i32 s0, s0, s45
	s_mul_hi_u32 s51, s41, s0
	s_mul_i32 s52, s41, s0
	s_mul_i32 s54, s45, s44
	s_mul_hi_u32 s0, s45, s0
	s_mul_hi_u32 s53, s45, s44
	s_add_u32 s0, s0, s54
	s_addc_u32 s45, 0, s53
	s_add_u32 s0, s0, s52
	s_mul_hi_u32 s1, s41, s44
	s_addc_u32 s0, s45, s51
	s_addc_u32 s1, s1, 0
	s_mul_i32 s44, s41, s44
	s_add_u32 s0, s0, s44
	s_addc_u32 s1, 0, s1
	v_add_co_u32_e32 v3, vcc, s0, v3
	s_cmp_lg_u64 vcc, 0
	s_addc_u32 s0, s41, s1
	v_readfirstlane_b32 s44, v3
	s_mul_i32 s41, s26, s0
	s_mul_hi_u32 s45, s26, s44
	s_mul_hi_u32 s1, s26, s0
	s_add_u32 s41, s45, s41
	s_addc_u32 s1, 0, s1
	s_mul_hi_u32 s51, s27, s44
	s_mul_i32 s44, s27, s44
	s_add_u32 s41, s41, s44
	s_mul_hi_u32 s45, s27, s0
	s_addc_u32 s1, s1, s51
	s_addc_u32 s41, s45, 0
	s_mul_i32 s0, s27, s0
	s_add_u32 s44, s1, s0
	s_addc_u32 s41, 0, s41
	s_mul_i32 s0, s42, s41
	s_mul_hi_u32 s1, s42, s44
	s_add_i32 s0, s1, s0
	s_mul_i32 s1, s43, s44
	s_add_i32 s45, s0, s1
	s_mul_i32 s1, s42, s44
	v_mov_b32_e32 v3, s1
	s_sub_i32 s0, s27, s45
	v_sub_co_u32_e32 v3, vcc, s26, v3
	s_cmp_lg_u64 vcc, 0
	s_subb_u32 s51, s0, s43
	v_subrev_co_u32_e64 v4, s[0:1], s42, v3
	s_cmp_lg_u64 s[0:1], 0
	s_subb_u32 s0, s51, 0
	s_cmp_ge_u32 s0, s43
	v_readfirstlane_b32 s51, v4
	s_cselect_b32 s1, -1, 0
	s_cmp_ge_u32 s51, s42
	s_cselect_b32 s51, -1, 0
	s_cmp_eq_u32 s0, s43
	s_cselect_b32 s0, s51, s1
	s_add_u32 s1, s44, 1
	s_addc_u32 s51, s41, 0
	s_add_u32 s52, s44, 2
	s_addc_u32 s53, s41, 0
	s_cmp_lg_u32 s0, 0
	s_cselect_b32 s0, s52, s1
	s_cselect_b32 s1, s53, s51
	s_cmp_lg_u64 vcc, 0
	s_subb_u32 s45, s27, s45
	s_cmp_ge_u32 s45, s43
	v_readfirstlane_b32 s52, v3
	s_cselect_b32 s51, -1, 0
	s_cmp_ge_u32 s52, s42
	s_cselect_b32 s52, -1, 0
	s_cmp_eq_u32 s45, s43
	s_cselect_b32 s45, s52, s51
	s_cmp_lg_u32 s45, 0
	s_cselect_b32 s1, s1, s41
	s_cselect_b32 s0, s0, s44
	s_cbranch_execnz .LBB0_7
.LBB0_6:                                ;   in Loop: Header=BB0_4 Depth=1
	v_cvt_f32_u32_e32 v3, s42
	s_sub_i32 s0, 0, s42
	v_rcp_iflag_f32_e32 v3, v3
	v_mul_f32_e32 v3, 0x4f7ffffe, v3
	v_cvt_u32_f32_e32 v3, v3
	v_readfirstlane_b32 s1, v3
	s_mul_i32 s0, s0, s1
	s_mul_hi_u32 s0, s1, s0
	s_add_i32 s1, s1, s0
	s_mul_hi_u32 s0, s26, s1
	s_mul_i32 s41, s0, s42
	s_sub_i32 s41, s26, s41
	s_add_i32 s1, s0, 1
	s_sub_i32 s44, s41, s42
	s_cmp_ge_u32 s41, s42
	s_cselect_b32 s0, s1, s0
	s_cselect_b32 s41, s44, s41
	s_add_i32 s1, s0, 1
	s_cmp_ge_u32 s41, s42
	s_cselect_b32 s0, s1, s0
	s_mov_b32 s1, s40
.LBB0_7:                                ;   in Loop: Header=BB0_4 Depth=1
	s_mul_i32 s31, s42, s31
	s_mul_hi_u32 s41, s42, s30
	s_add_i32 s31, s41, s31
	s_mul_i32 s41, s43, s30
	s_add_i32 s31, s31, s41
	s_mul_i32 s41, s0, s43
	s_mul_hi_u32 s43, s0, s42
	s_load_dwordx2 s[44:45], s[34:35], 0x0
	s_add_i32 s41, s43, s41
	s_mul_i32 s43, s1, s42
	s_mul_i32 s30, s42, s30
	s_add_i32 s41, s41, s43
	s_mul_i32 s42, s0, s42
	s_sub_u32 s42, s26, s42
	s_subb_u32 s41, s27, s41
	s_waitcnt lgkmcnt(0)
	s_mul_i32 s26, s44, s41
	s_mul_hi_u32 s27, s44, s42
	s_add_i32 s43, s27, s26
	s_load_dwordx2 s[26:27], s[4:5], 0x0
	s_mul_i32 s45, s45, s42
	s_add_i32 s43, s43, s45
	s_mul_i32 s44, s44, s42
	s_add_u32 s50, s44, s50
	s_addc_u32 s49, s43, s49
	s_waitcnt lgkmcnt(0)
	s_mul_i32 s41, s26, s41
	s_mul_hi_u32 s43, s26, s42
	s_add_i32 s41, s43, s41
	s_mul_i32 s27, s27, s42
	s_add_i32 s41, s41, s27
	s_mul_i32 s26, s26, s42
	s_add_u32 s48, s26, s48
	s_addc_u32 s47, s41, s47
	s_add_u32 s38, s38, 1
	s_addc_u32 s39, s39, 0
	;; [unrolled: 2-line block ×4, first 2 shown]
	v_cmp_ge_u64_e32 vcc, s[38:39], v[1:2]
	s_add_u32 s36, s36, 8
	s_addc_u32 s37, s37, 0
	s_cbranch_vccnz .LBB0_10
; %bb.8:                                ;   in Loop: Header=BB0_4 Depth=1
	s_mov_b64 s[26:27], s[0:1]
	s_branch .LBB0_4
.LBB0_9:                                ;   in Loop: Header=BB0_4 Depth=1
                                        ; implicit-def: $sgpr0_sgpr1
	s_branch .LBB0_6
.LBB0_10:
	v_mov_b32_e32 v1, s30
	v_mov_b32_e32 v2, s31
	v_cmp_lt_u64_e32 vcc, s[6:7], v[1:2]
	s_mov_b64 s[26:27], 0
	s_cbranch_vccnz .LBB0_12
; %bb.11:
	v_cvt_f32_u32_e32 v1, s30
	s_sub_i32 s0, 0, s30
	v_rcp_iflag_f32_e32 v1, v1
	v_mul_f32_e32 v1, 0x4f7ffffe, v1
	v_cvt_u32_f32_e32 v1, v1
	v_readfirstlane_b32 s1, v1
	s_mul_i32 s0, s0, s1
	s_mul_hi_u32 s0, s1, s0
	s_add_i32 s1, s1, s0
	s_mul_hi_u32 s0, s6, s1
	s_mul_i32 s4, s0, s30
	s_sub_i32 s4, s6, s4
	s_add_i32 s1, s0, 1
	s_sub_i32 s5, s4, s30
	s_cmp_ge_u32 s4, s30
	s_cselect_b32 s0, s1, s0
	s_cselect_b32 s4, s5, s4
	s_add_i32 s1, s0, 1
	s_cmp_ge_u32 s4, s30
	s_cselect_b32 s26, s1, s0
.LBB0_12:
	s_lshl_b64 s[0:1], s[18:19], 3
	s_add_u32 s2, s2, s0
	s_addc_u32 s3, s3, s1
	s_load_dwordx2 s[2:3], s[2:3], 0x0
	v_mov_b32_e32 v1, s24
	v_mov_b32_e32 v2, s25
	s_waitcnt lgkmcnt(0)
	s_mul_i32 s3, s3, s26
	s_mul_hi_u32 s4, s2, s26
	s_mul_i32 s2, s2, s26
	s_add_i32 s4, s4, s3
	s_add_u32 s2, s2, s50
	s_addc_u32 s3, s4, s49
	s_add_u32 s0, s28, s0
	s_addc_u32 s1, s29, s1
	s_add_u32 s18, s46, 6
	s_load_dwordx2 s[6:7], s[0:1], 0x0
	s_addc_u32 s19, s33, 0
	v_cmp_le_u64_e64 s[0:1], s[18:19], v[1:2]
	v_mul_u32_u24_e32 v1, 0x2aab, v0
	v_lshrrev_b32_e32 v6, 16, v1
	v_mul_lo_u16_e32 v1, 6, v6
	v_sub_u16_e32 v1, v0, v1
	s_and_b64 vcc, exec, s[0:1]
	s_cbranch_vccz .LBB0_16
; %bb.13:
	v_mad_u64_u32 v[2:3], s[4:5], s22, v1, 0
	v_mad_u64_u32 v[4:5], s[4:5], s20, v6, 0
	v_add_u32_e32 v10, 56, v6
	v_add_u32_e32 v11, 0x70, v6
	v_mad_u64_u32 v[7:8], s[4:5], s23, v1, v[3:4]
	v_mov_b32_e32 v3, v5
	v_mad_u64_u32 v[8:9], s[4:5], s21, v6, v[3:4]
	s_lshl_b64 s[4:5], s[2:3], 2
	s_add_u32 s27, s12, s4
	s_addc_u32 s4, s13, s5
	v_mov_b32_e32 v3, v7
	v_mov_b32_e32 v5, v8
	;; [unrolled: 1-line block ×3, first 2 shown]
	v_mad_u64_u32 v[7:8], s[4:5], s20, v10, 0
	v_lshlrev_b64 v[2:3], 2, v[2:3]
	v_add_u32_e32 v13, 0xa8, v6
	v_add_co_u32_e32 v2, vcc, s27, v2
	v_addc_co_u32_e32 v3, vcc, v9, v3, vcc
	v_mad_u64_u32 v[8:9], s[4:5], s21, v10, v[8:9]
	v_mad_u64_u32 v[9:10], s[4:5], s20, v11, 0
	v_add_u32_e32 v15, 0xe0, v6
	v_lshlrev_b64 v[4:5], 2, v[4:5]
	v_mad_u64_u32 v[10:11], s[4:5], s21, v11, v[10:11]
	v_mad_u64_u32 v[11:12], s[4:5], s20, v13, 0
	v_add_u32_e32 v17, 0x118, v6
	v_add_co_u32_e32 v4, vcc, v2, v4
	v_mad_u64_u32 v[12:13], s[4:5], s21, v13, v[12:13]
	v_mad_u64_u32 v[13:14], s[4:5], s20, v15, 0
	v_lshlrev_b64 v[7:8], 2, v[7:8]
	v_addc_co_u32_e32 v5, vcc, v3, v5, vcc
	v_mad_u64_u32 v[14:15], s[4:5], s21, v15, v[14:15]
	v_mad_u64_u32 v[15:16], s[4:5], s20, v17, 0
	v_add_co_u32_e32 v7, vcc, v2, v7
	v_lshlrev_b64 v[9:10], 2, v[9:10]
	v_addc_co_u32_e32 v8, vcc, v3, v8, vcc
	v_add_co_u32_e32 v9, vcc, v2, v9
	v_lshlrev_b64 v[11:12], 2, v[11:12]
	v_mad_u64_u32 v[16:17], s[4:5], s21, v17, v[16:17]
	v_addc_co_u32_e32 v10, vcc, v3, v10, vcc
	v_add_co_u32_e32 v11, vcc, v2, v11
	v_lshlrev_b64 v[13:14], 2, v[13:14]
	v_addc_co_u32_e32 v12, vcc, v3, v12, vcc
	v_add_co_u32_e32 v13, vcc, v2, v13
	v_lshlrev_b64 v[15:16], 2, v[15:16]
	v_addc_co_u32_e32 v14, vcc, v3, v14, vcc
	v_add_co_u32_e32 v15, vcc, v2, v15
	v_addc_co_u32_e32 v16, vcc, v3, v16, vcc
	global_load_dword v17, v[4:5], off
	global_load_dword v18, v[7:8], off
	;; [unrolled: 1-line block ×6, first 2 shown]
	v_mul_u32_u24_e32 v7, 0x544, v1
	v_lshlrev_b32_e32 v4, 2, v6
	v_add3_u32 v4, 0, v7, v4
	v_cmp_gt_u32_e32 vcc, 6, v0
	s_mov_b64 s[4:5], 0
	s_mov_b64 s[28:29], 0
	s_waitcnt vmcnt(4)
	ds_write2_b32 v4, v17, v18 offset1:56
	s_waitcnt vmcnt(2)
	ds_write2_b32 v4, v19, v20 offset0:112 offset1:168
	v_add_u32_e32 v4, 0x200, v4
	s_waitcnt vmcnt(0)
	ds_write2_b32 v4, v21, v22 offset0:96 offset1:152
                                        ; implicit-def: $vgpr4
	s_and_saveexec_b64 s[30:31], vcc
; %bb.14:
	s_mov_b64 s[28:29], exec
	v_or_b32_e32 v4, 0x150, v6
; %bb.15:
	s_or_b64 exec, exec, s[30:31]
	s_and_b64 vcc, exec, s[4:5]
	s_cbranch_vccnz .LBB0_17
	s_branch .LBB0_25
.LBB0_16:
	s_mov_b64 s[28:29], 0
                                        ; implicit-def: $vgpr7
                                        ; implicit-def: $vgpr2_vgpr3
                                        ; implicit-def: $vgpr4
	s_cbranch_execz .LBB0_25
.LBB0_17:
	v_mov_b32_e32 v3, s33
	v_add_co_u32_e32 v2, vcc, s46, v1
	v_addc_co_u32_e32 v3, vcc, 0, v3, vcc
	v_cmp_gt_u64_e32 vcc, s[24:25], v[2:3]
                                        ; implicit-def: $vgpr7
                                        ; implicit-def: $vgpr2_vgpr3
                                        ; implicit-def: $vgpr4
	s_and_saveexec_b64 s[30:31], vcc
	s_cbranch_execz .LBB0_24
; %bb.18:
	v_mad_u64_u32 v[2:3], s[4:5], s22, v1, 0
	v_mad_u64_u32 v[4:5], s[4:5], s20, v6, 0
	s_lshl_b64 s[2:3], s[2:3], 2
	v_add_u32_e32 v10, 56, v6
	v_mad_u64_u32 v[7:8], s[4:5], s23, v1, v[3:4]
	v_mov_b32_e32 v3, v5
	v_mad_u64_u32 v[8:9], s[4:5], s21, v6, v[3:4]
	s_add_u32 s4, s12, s2
	s_addc_u32 s2, s13, s3
	v_mov_b32_e32 v3, v7
	v_mov_b32_e32 v5, v8
	;; [unrolled: 1-line block ×3, first 2 shown]
	v_mad_u64_u32 v[7:8], s[2:3], s20, v10, 0
	v_lshlrev_b64 v[2:3], 2, v[2:3]
	v_add_u32_e32 v11, 0x70, v6
	v_add_co_u32_e32 v2, vcc, s4, v2
	v_addc_co_u32_e32 v3, vcc, v9, v3, vcc
	v_mad_u64_u32 v[8:9], s[2:3], s21, v10, v[8:9]
	v_mad_u64_u32 v[9:10], s[2:3], s20, v11, 0
	v_add_u32_e32 v13, 0xa8, v6
	v_add_u32_e32 v15, 0xe0, v6
	v_mad_u64_u32 v[10:11], s[2:3], s21, v11, v[10:11]
	v_mad_u64_u32 v[11:12], s[2:3], s20, v13, 0
	v_lshlrev_b64 v[4:5], 2, v[4:5]
	v_lshlrev_b64 v[7:8], 2, v[7:8]
	v_mad_u64_u32 v[12:13], s[2:3], s21, v13, v[12:13]
	v_mad_u64_u32 v[13:14], s[2:3], s20, v15, 0
	v_add_co_u32_e32 v4, vcc, v2, v4
	v_addc_co_u32_e32 v5, vcc, v3, v5, vcc
	v_add_co_u32_e32 v7, vcc, v2, v7
	v_lshlrev_b64 v[9:10], 2, v[9:10]
	v_mad_u64_u32 v[14:15], s[2:3], s21, v15, v[14:15]
	v_add_u32_e32 v17, 0x118, v6
	v_addc_co_u32_e32 v8, vcc, v3, v8, vcc
	v_mad_u64_u32 v[15:16], s[2:3], s20, v17, 0
	v_add_co_u32_e32 v9, vcc, v2, v9
	v_lshlrev_b64 v[11:12], 2, v[11:12]
	v_addc_co_u32_e32 v10, vcc, v3, v10, vcc
	v_add_co_u32_e32 v11, vcc, v2, v11
	v_addc_co_u32_e32 v12, vcc, v3, v12, vcc
	global_load_dword v18, v[4:5], off
	global_load_dword v19, v[7:8], off
	;; [unrolled: 1-line block ×4, first 2 shown]
	v_mov_b32_e32 v7, v16
	v_mad_u64_u32 v[7:8], s[2:3], s21, v17, v[7:8]
	v_lshlrev_b64 v[4:5], 2, v[13:14]
	s_or_b64 s[4:5], s[18:19], s[24:25]
	v_mov_b32_e32 v16, v7
	v_add_co_u32_e32 v4, vcc, v2, v4
	v_lshlrev_b64 v[7:8], 2, v[15:16]
	v_addc_co_u32_e32 v5, vcc, v3, v5, vcc
	v_add_co_u32_e32 v7, vcc, v2, v7
	v_addc_co_u32_e32 v8, vcc, v3, v8, vcc
	global_load_dword v9, v[4:5], off
	global_load_dword v10, v[7:8], off
	v_mul_u32_u24_e32 v7, 0x544, v1
	v_lshlrev_b32_e32 v1, 2, v6
	s_mov_b32 s2, 0
	v_add3_u32 v1, 0, v7, v1
	s_mov_b32 s3, s5
	s_cmp_lg_u64 s[2:3], 0
	s_waitcnt vmcnt(4)
	ds_write2_b32 v1, v18, v19 offset1:56
	s_waitcnt vmcnt(2)
	ds_write2_b32 v1, v20, v21 offset0:112 offset1:168
	v_add_u32_e32 v1, 0x200, v1
	s_waitcnt vmcnt(0)
	ds_write2_b32 v1, v9, v10 offset0:96 offset1:152
	s_cbranch_scc0 .LBB0_46
; %bb.19:
	v_cvt_f32_u32_e32 v1, s24
	v_cvt_f32_u32_e32 v4, s25
	s_sub_u32 s2, 0, s24
	s_subb_u32 s3, 0, s25
	v_madmk_f32 v1, v4, 0x4f800000, v1
	v_rcp_f32_e32 v1, v1
	v_mul_f32_e32 v1, 0x5f7ffffc, v1
	v_mul_f32_e32 v4, 0x2f800000, v1
	v_trunc_f32_e32 v4, v4
	v_madmk_f32 v1, v4, 0xcf800000, v1
	v_cvt_u32_f32_e32 v4, v4
	v_cvt_u32_f32_e32 v1, v1
	v_readfirstlane_b32 s4, v4
	v_readfirstlane_b32 s5, v1
	s_mul_i32 s22, s2, s4
	s_mul_hi_u32 s27, s2, s5
	s_mul_i32 s23, s3, s5
	s_add_i32 s22, s27, s22
	s_add_i32 s22, s22, s23
	s_mul_i32 s34, s2, s5
	s_mul_hi_u32 s23, s5, s22
	s_mul_i32 s27, s5, s22
	s_mul_hi_u32 s5, s5, s34
	s_add_u32 s5, s5, s27
	s_addc_u32 s23, 0, s23
	s_mul_hi_u32 s35, s4, s34
	s_mul_i32 s34, s4, s34
	s_add_u32 s5, s5, s34
	s_mul_hi_u32 s27, s4, s22
	s_addc_u32 s5, s23, s35
	s_addc_u32 s23, s27, 0
	s_mul_i32 s22, s4, s22
	s_add_u32 s5, s5, s22
	s_addc_u32 s22, 0, s23
	v_add_co_u32_e32 v1, vcc, s5, v1
	s_cmp_lg_u64 vcc, 0
	s_addc_u32 s4, s4, s22
	v_readfirstlane_b32 s22, v1
	s_mul_i32 s5, s2, s4
	s_mul_hi_u32 s23, s2, s22
	s_add_i32 s5, s23, s5
	s_mul_i32 s3, s3, s22
	s_add_i32 s5, s5, s3
	s_mul_i32 s2, s2, s22
	s_mul_hi_u32 s23, s4, s2
	s_mul_i32 s27, s4, s2
	s_mul_i32 s35, s22, s5
	s_mul_hi_u32 s2, s22, s2
	s_mul_hi_u32 s34, s22, s5
	s_add_u32 s2, s2, s35
	s_addc_u32 s22, 0, s34
	s_add_u32 s2, s2, s27
	s_mul_hi_u32 s3, s4, s5
	s_addc_u32 s2, s22, s23
	s_addc_u32 s3, s3, 0
	s_mul_i32 s5, s4, s5
	s_add_u32 s2, s2, s5
	s_addc_u32 s3, 0, s3
	v_add_co_u32_e32 v1, vcc, s2, v1
	s_cmp_lg_u64 vcc, 0
	s_addc_u32 s2, s4, s3
	v_readfirstlane_b32 s5, v1
	s_mul_i32 s4, s18, s2
	s_mul_hi_u32 s22, s18, s5
	s_mul_hi_u32 s3, s18, s2
	s_add_u32 s4, s22, s4
	s_addc_u32 s3, 0, s3
	s_mul_hi_u32 s23, s19, s5
	s_mul_i32 s5, s19, s5
	s_add_u32 s4, s4, s5
	s_mul_hi_u32 s22, s19, s2
	s_addc_u32 s3, s3, s23
	s_addc_u32 s4, s22, 0
	s_mul_i32 s2, s19, s2
	s_add_u32 s2, s3, s2
	s_addc_u32 s3, 0, s4
	s_mul_i32 s3, s24, s3
	s_mul_hi_u32 s4, s24, s2
	s_add_i32 s3, s4, s3
	s_mul_i32 s4, s25, s2
	s_mul_i32 s2, s24, s2
	s_add_i32 s22, s3, s4
	v_mov_b32_e32 v1, s2
	s_sub_i32 s3, s19, s22
	v_sub_co_u32_e32 v1, vcc, s18, v1
	s_cmp_lg_u64 vcc, 0
	s_subb_u32 s23, s3, s25
	v_subrev_co_u32_e64 v4, s[2:3], s24, v1
	s_cmp_lg_u64 s[2:3], 0
	s_subb_u32 s27, s23, 0
	s_cmp_ge_u32 s27, s25
	s_cselect_b32 s34, -1, 0
	v_cmp_le_u32_e64 s[4:5], s24, v4
	s_cmp_eq_u32 s27, s25
	v_cndmask_b32_e64 v5, 0, -1, s[4:5]
	v_mov_b32_e32 v8, s34
	s_cselect_b64 s[4:5], -1, 0
	s_cmp_lg_u64 s[2:3], 0
	v_cndmask_b32_e64 v5, v8, v5, s[4:5]
	s_subb_u32 s4, s23, s25
	v_subrev_co_u32_e64 v8, s[2:3], s24, v4
	s_cmp_lg_u64 s[2:3], 0
	s_subb_u32 s4, s4, 0
	v_cmp_ne_u32_e64 s[2:3], 0, v5
	v_cndmask_b32_e64 v4, v4, v8, s[2:3]
	v_mov_b32_e32 v5, s27
	v_mov_b32_e32 v8, s4
	s_cmp_lg_u64 vcc, 0
	v_cndmask_b32_e64 v5, v5, v8, s[2:3]
	s_subb_u32 s2, s19, s22
	s_cmp_ge_u32 s2, s25
	s_cselect_b32 s3, -1, 0
	v_cmp_le_u32_e32 vcc, s24, v1
	s_cmp_eq_u32 s2, s25
	v_cndmask_b32_e64 v8, 0, -1, vcc
	v_mov_b32_e32 v9, s3
	s_cselect_b64 vcc, -1, 0
	v_cndmask_b32_e32 v8, v9, v8, vcc
	v_mov_b32_e32 v9, s2
	v_cmp_ne_u32_e32 vcc, 0, v8
	v_cndmask_b32_e32 v5, v9, v5, vcc
	v_cndmask_b32_e32 v4, v1, v4, vcc
	s_cbranch_execnz .LBB0_21
.LBB0_20:
	v_cvt_f32_u32_e32 v1, s24
	s_sub_i32 s2, 0, s24
	v_mov_b32_e32 v5, 0
	v_rcp_iflag_f32_e32 v1, v1
	v_mul_f32_e32 v1, 0x4f7ffffe, v1
	v_cvt_u32_f32_e32 v1, v1
	v_mul_lo_u32 v4, s2, v1
	v_mul_hi_u32 v4, v1, v4
	v_add_u32_e32 v1, v1, v4
	v_mul_hi_u32 v1, s18, v1
	v_mul_lo_u32 v1, v1, s24
	v_sub_u32_e32 v1, s18, v1
	v_subrev_u32_e32 v4, s24, v1
	v_cmp_le_u32_e32 vcc, s24, v1
	v_cndmask_b32_e32 v1, v1, v4, vcc
	v_subrev_u32_e32 v4, s24, v1
	v_cmp_le_u32_e32 vcc, s24, v1
	v_cndmask_b32_e32 v4, v1, v4, vcc
.LBB0_21:
	v_sub_co_u32_e32 v4, vcc, 6, v4
	v_mov_b32_e32 v1, 0
	v_subb_co_u32_e32 v5, vcc, 0, v5, vcc
	v_cmp_gt_u64_e32 vcc, v[4:5], v[0:1]
	s_mov_b64 s[2:3], s[28:29]
                                        ; implicit-def: $vgpr4
	s_and_saveexec_b64 s[4:5], vcc
; %bb.22:
	v_add_u32_e32 v4, 0x150, v6
	s_or_b64 s[2:3], s[28:29], exec
; %bb.23:
	s_or_b64 exec, exec, s[4:5]
	s_andn2_b64 s[4:5], s[28:29], exec
	s_and_b64 s[2:3], s[2:3], exec
	s_or_b64 s[28:29], s[4:5], s[2:3]
.LBB0_24:
	s_or_b64 exec, exec, s[30:31]
.LBB0_25:
	s_and_saveexec_b64 s[2:3], s[28:29]
	s_cbranch_execz .LBB0_27
; %bb.26:
	v_mad_u64_u32 v[5:6], s[4:5], s20, v4, 0
	v_mov_b32_e32 v1, v6
	v_mad_u64_u32 v[8:9], s[4:5], s21, v4, v[1:2]
	v_mov_b32_e32 v6, v8
	v_lshlrev_b64 v[4:5], 2, v[5:6]
	v_add_co_u32_e32 v1, vcc, v2, v4
	v_addc_co_u32_e32 v2, vcc, v3, v5, vcc
	global_load_dword v1, v[1:2], off
	v_add_u32_e32 v2, 0, v7
	s_waitcnt vmcnt(0)
	ds_write_b32 v2, v1 offset:1344
.LBB0_27:
	s_or_b64 exec, exec, s[2:3]
	s_movk_i32 s2, 0x493
	v_mul_u32_u24_sdwa v1, v0, s2 dst_sel:DWORD dst_unused:UNUSED_PAD src0_sel:WORD_0 src1_sel:DWORD
	s_add_u32 s2, 0, 0xaaa80000
	s_addc_u32 s3, 0, 0xaa
	s_add_i32 s3, s3, 0x2aaaaa00
	s_mul_hi_u32 s13, s2, -6
	s_sub_i32 s13, s13, s2
	s_mul_i32 s18, s3, -6
	s_mul_i32 s4, s2, -6
	s_add_i32 s13, s13, s18
	s_mul_hi_u32 s5, s3, s4
	s_mul_i32 s12, s3, s4
	s_mul_i32 s19, s2, s13
	s_mul_hi_u32 s4, s2, s4
	s_mul_hi_u32 s18, s2, s13
	s_add_u32 s4, s4, s19
	s_addc_u32 s18, 0, s18
	s_add_u32 s4, s4, s12
	s_mul_hi_u32 s19, s3, s13
	s_addc_u32 s4, s18, s5
	v_lshrrev_b32_e32 v5, 16, v1
	s_addc_u32 s5, s19, 0
	s_mul_i32 s12, s3, s13
	v_mov_b32_e32 v1, s33
	v_add_co_u32_e32 v6, vcc, s46, v5
	s_add_u32 s4, s4, s12
	v_addc_co_u32_e32 v7, vcc, 0, v1, vcc
	v_mov_b32_e32 v1, s4
	s_addc_u32 s5, 0, s5
	v_add_co_u32_e32 v3, vcc, s2, v1
	s_cmp_lg_u64 vcc, 0
	s_addc_u32 s4, s3, s5
	v_mad_u64_u32 v[1:2], s[2:3], v6, s4, 0
	v_mul_hi_u32 v4, v6, v3
	s_waitcnt lgkmcnt(0)
	s_barrier
	v_add_co_u32_e32 v8, vcc, v4, v1
	v_addc_co_u32_e32 v9, vcc, 0, v2, vcc
	v_mad_u64_u32 v[1:2], s[2:3], v7, v3, 0
	v_mad_u64_u32 v[3:4], s[2:3], v7, s4, 0
	v_add_co_u32_e32 v1, vcc, v8, v1
	v_addc_co_u32_e32 v1, vcc, v9, v2, vcc
	v_addc_co_u32_e32 v2, vcc, 0, v4, vcc
	v_add_co_u32_e32 v1, vcc, v1, v3
	v_addc_co_u32_e32 v3, vcc, 0, v2, vcc
	v_mad_u64_u32 v[1:2], s[2:3], v1, 6, 0
	v_mad_u64_u32 v[2:3], s[2:3], v3, 6, v[2:3]
	v_sub_co_u32_e32 v1, vcc, v6, v1
	v_subb_co_u32_e32 v2, vcc, v7, v2, vcc
	v_subrev_co_u32_e32 v3, vcc, 6, v1
	v_subbrev_co_u32_e32 v4, vcc, 0, v2, vcc
	v_cmp_lt_u32_e32 vcc, 5, v3
	v_cndmask_b32_e64 v6, 0, -1, vcc
	v_cmp_eq_u32_e32 vcc, 0, v4
	v_cndmask_b32_e32 v4, -1, v6, vcc
	v_add_u32_e32 v6, -6, v3
	v_cmp_ne_u32_e32 vcc, 0, v4
	v_cndmask_b32_e32 v3, v3, v6, vcc
	v_cmp_lt_u32_e32 vcc, 5, v1
	v_cndmask_b32_e64 v4, 0, -1, vcc
	v_cmp_eq_u32_e32 vcc, 0, v2
	v_cndmask_b32_e32 v2, -1, v4, vcc
	v_cmp_ne_u32_e32 vcc, 0, v2
	v_cndmask_b32_e32 v1, v1, v3, vcc
	v_mul_u32_u24_e32 v3, 0x151, v1
	v_mul_lo_u16_e32 v1, 56, v5
	v_sub_u16_e32 v8, v0, v1
	v_lshl_add_u32 v6, v3, 2, 0
	v_lshlrev_b32_e32 v2, 2, v8
	v_add_u32_e32 v7, v6, v2
	v_sub_u32_e32 v1, v6, v2
	ds_read_u16 v9, v7
	ds_read_u16 v10, v1 offset:1344
	v_cmp_ne_u16_e32 vcc, 0, v8
	s_waitcnt lgkmcnt(0)
	v_add_f16_e32 v4, v10, v9
	v_sub_f16_e32 v5, v9, v10
	s_and_saveexec_b64 s[2:3], vcc
	s_xor_b64 s[2:3], exec, s[2:3]
	s_cbranch_execz .LBB0_29
; %bb.28:
	global_load_dword v6, v2, s[16:17] offset:1320
	ds_read_u16 v4, v1 offset:1346
	ds_read_u16 v5, v7 offset:2
	v_add_f16_e32 v11, v10, v9
	v_sub_f16_e32 v9, v9, v10
	s_waitcnt lgkmcnt(0)
	v_add_f16_e32 v10, v4, v5
	v_sub_f16_e32 v4, v5, v4
	s_waitcnt vmcnt(0)
	v_lshrrev_b32_e32 v5, 16, v6
	v_fma_f16 v12, v9, v5, v11
	v_fma_f16 v13, v10, v5, v4
	v_fma_f16 v11, -v9, v5, v11
	v_fma_f16 v14, v10, v5, -v4
	v_fma_f16 v4, -v6, v10, v12
	v_fma_f16 v5, v9, v6, v13
	v_fma_f16 v10, v6, v10, v11
	;; [unrolled: 1-line block ×3, first 2 shown]
	v_pack_b32_f16 v6, v10, v6
	ds_write_b32 v1, v6 offset:1344
                                        ; implicit-def: $vgpr6
.LBB0_29:
	s_andn2_saveexec_b64 s[2:3], s[2:3]
	s_cbranch_execz .LBB0_31
; %bb.30:
	ds_read_b32 v9, v6 offset:672
	s_mov_b32 s4, 0xc0004000
	s_waitcnt lgkmcnt(0)
	v_pk_mul_f16 v9, v9, s4
	ds_write_b32 v6, v9 offset:672
.LBB0_31:
	s_or_b64 exec, exec, s[2:3]
	s_add_u32 s2, s16, 0x528
	s_addc_u32 s3, s17, 0
	global_load_dword v6, v2, s[2:3] offset:224
	global_load_dword v11, v2, s[2:3] offset:448
	s_mov_b32 s2, 0x5040100
	v_perm_b32 v4, v5, v4, s2
	ds_write_b32 v7, v4
	ds_read_b32 v4, v7 offset:224
	ds_read_b32 v5, v1 offset:1120
	v_lshlrev_b32_e32 v10, 2, v3
	s_movk_i32 s2, 0x3aee
	s_mov_b32 s3, 0xb8003800
	s_mov_b32 s4, 0xffff
	s_waitcnt lgkmcnt(0)
	v_add_f16_e32 v3, v4, v5
	v_add_f16_sdwa v9, v5, v4 dst_sel:DWORD dst_unused:UNUSED_PAD src0_sel:WORD_1 src1_sel:WORD_1
	v_sub_f16_e32 v12, v4, v5
	v_sub_f16_sdwa v4, v4, v5 dst_sel:DWORD dst_unused:UNUSED_PAD src0_sel:WORD_1 src1_sel:WORD_1
	v_cmp_gt_u16_e32 vcc, 48, v8
	s_waitcnt vmcnt(1)
	v_lshrrev_b32_e32 v5, 16, v6
	v_fma_f16 v13, v12, v5, v3
	v_fma_f16 v14, v9, v5, v4
	v_fma_f16 v3, -v12, v5, v3
	v_fma_f16 v4, v9, v5, -v4
	v_fma_f16 v5, -v6, v9, v13
	v_fma_f16 v13, v12, v6, v14
	v_fma_f16 v3, v6, v9, v3
	;; [unrolled: 1-line block ×3, first 2 shown]
	v_pack_b32_f16 v5, v5, v13
	v_pack_b32_f16 v3, v3, v4
	ds_write_b32 v7, v5 offset:224
	ds_write_b32 v1, v3 offset:1120
	ds_read_b32 v3, v7 offset:448
	ds_read_b32 v4, v1 offset:896
	v_add3_u32 v9, 0, v2, v10
	s_waitcnt vmcnt(0)
	v_lshrrev_b32_e32 v2, 16, v11
	v_mad_u32_u24 v13, v8, 20, v9
	s_waitcnt lgkmcnt(0)
	v_add_f16_e32 v5, v3, v4
	v_add_f16_sdwa v6, v4, v3 dst_sel:DWORD dst_unused:UNUSED_PAD src0_sel:WORD_1 src1_sel:WORD_1
	v_sub_f16_e32 v12, v3, v4
	v_sub_f16_sdwa v3, v3, v4 dst_sel:DWORD dst_unused:UNUSED_PAD src0_sel:WORD_1 src1_sel:WORD_1
	v_fma_f16 v4, v12, v2, v5
	v_fma_f16 v14, v6, v2, v3
	v_fma_f16 v5, -v12, v2, v5
	v_fma_f16 v2, v6, v2, -v3
	v_fma_f16 v3, -v11, v6, v4
	v_fma_f16 v4, v12, v11, v14
	v_fma_f16 v5, v11, v6, v5
	;; [unrolled: 1-line block ×3, first 2 shown]
	v_pack_b32_f16 v3, v3, v4
	v_pack_b32_f16 v2, v5, v2
	ds_write_b32 v7, v3 offset:448
	ds_write_b32 v1, v2 offset:896
	s_waitcnt lgkmcnt(0)
	s_barrier
	s_barrier
	ds_read2_b32 v[1:2], v9 offset0:56 offset1:112
	ds_read2_b32 v[3:4], v9 offset0:168 offset1:224
	ds_read_b32 v5, v7
	ds_read_b32 v6, v9 offset:1120
	s_waitcnt lgkmcnt(0)
	s_barrier
	v_pk_add_f16 v14, v2, v4
	v_pk_add_f16 v11, v5, v2
	;; [unrolled: 1-line block ×4, first 2 shown]
	v_pk_add_f16 v2, v2, v4 neg_lo:[0,1] neg_hi:[0,1]
	v_pk_add_f16 v3, v3, v6 neg_lo:[0,1] neg_hi:[0,1]
	v_pk_fma_f16 v5, v14, 0.5, v5 op_sel_hi:[1,0,1] neg_lo:[1,0,0] neg_hi:[1,0,0]
	v_pk_fma_f16 v1, v15, 0.5, v1 op_sel_hi:[1,0,1] neg_lo:[1,0,0] neg_hi:[1,0,0]
	v_pk_add_f16 v4, v11, v4
	v_pk_add_f16 v6, v12, v6
	v_pk_fma_f16 v14, v2, s2, v5 op_sel:[0,0,1] op_sel_hi:[1,0,0] neg_lo:[1,0,0] neg_hi:[1,0,0]
	v_pk_fma_f16 v2, v2, s2, v5 op_sel:[0,0,1] op_sel_hi:[1,0,0]
	v_pk_fma_f16 v5, v3, s2, v1 op_sel:[0,0,1] op_sel_hi:[1,0,0]
	v_pk_fma_f16 v3, v3, s2, v1 op_sel:[0,0,1] op_sel_hi:[1,0,0] neg_lo:[1,0,0] neg_hi:[1,0,0]
	v_pk_add_f16 v12, v4, v6
	v_pk_add_f16 v1, v4, v6 neg_lo:[0,1] neg_hi:[0,1]
	v_lshrrev_b32_e32 v4, 16, v3
	v_mul_f16_e32 v6, 0x3aee, v5
	v_pk_mul_f16 v15, v3, s2 op_sel_hi:[1,0]
	v_lshrrev_b32_e32 v16, 16, v5
	v_mul_f16_e32 v3, -0.5, v3
	v_fma_f16 v4, v4, 0.5, -v6
	v_pk_fma_f16 v6, v5, s3, v15 op_sel:[0,0,1] op_sel_hi:[1,1,0]
	v_pk_fma_f16 v19, v5, s3, v15 op_sel:[0,0,1] op_sel_hi:[1,1,0] neg_lo:[0,0,1] neg_hi:[0,0,1]
	v_fma_f16 v3, v16, s2, v3
	v_alignbit_b32 v17, v2, v14, 16
	v_alignbit_b32 v18, v14, v2, 16
	v_add_f16_sdwa v5, v14, v4 dst_sel:DWORD dst_unused:UNUSED_PAD src0_sel:WORD_1 src1_sel:DWORD
	v_bfi_b32 v16, s4, v6, v19
	v_add_f16_e32 v15, v14, v3
	v_pack_b32_f16 v4, v4, v6
	v_alignbit_b32 v3, v3, v19, 16
	v_pk_add_f16 v16, v2, v16
	v_pk_add_f16 v2, v17, v4 neg_lo:[0,1] neg_hi:[0,1]
	v_pk_add_f16 v3, v18, v3 neg_lo:[0,1] neg_hi:[0,1]
	v_lshrrev_b32_e32 v11, 16, v1
	v_lshrrev_b32_e32 v6, 16, v16
	v_alignbit_b32 v4, v15, v16, 16
	v_lshrrev_b32_e32 v17, 16, v2
	v_lshrrev_b32_e32 v19, 16, v3
	v_pack_b32_f16 v14, v5, v16
	ds_write2_b32 v13, v1, v2 offset0:3 offset1:4
	ds_write2_b32 v13, v12, v3 offset1:5
	ds_write2_b32 v13, v14, v4 offset0:1 offset1:2
	s_waitcnt lgkmcnt(0)
	s_barrier
	s_waitcnt lgkmcnt(0)
                                        ; implicit-def: $vgpr18
	s_and_saveexec_b64 s[2:3], vcc
	s_cbranch_execz .LBB0_33
; %bb.32:
	v_add_u32_e32 v3, 0x200, v9
	ds_read2_b32 v[5:6], v9 offset0:48 offset1:96
	ds_read_b32 v12, v7
	ds_read2_b32 v[1:2], v9 offset0:144 offset1:192
	ds_read2_b32 v[3:4], v3 offset0:112 offset1:160
	s_waitcnt lgkmcnt(3)
	v_lshrrev_b32_e32 v16, 16, v5
	v_lshrrev_b32_e32 v15, 16, v6
	s_waitcnt lgkmcnt(1)
	v_lshrrev_b32_e32 v11, 16, v1
	v_lshrrev_b32_e32 v17, 16, v2
	;; [unrolled: 3-line block ×3, first 2 shown]
.LBB0_33:
	s_or_b64 exec, exec, s[2:3]
	s_movk_i32 s2, 0xab
	v_mul_lo_u16_sdwa v13, v8, s2 dst_sel:DWORD dst_unused:UNUSED_PAD src0_sel:BYTE_0 src1_sel:DWORD
	v_lshrrev_b16_e32 v13, 10, v13
	v_mul_lo_u16_e32 v14, 6, v13
	v_sub_u16_e32 v14, v8, v14
	v_mov_b32_e32 v20, 6
	v_mul_u32_u24_sdwa v20, v14, v20 dst_sel:DWORD dst_unused:UNUSED_PAD src0_sel:BYTE_0 src1_sel:DWORD
	v_lshlrev_b32_e32 v26, 2, v20
	global_load_dwordx4 v[20:23], v26, s[16:17]
	global_load_dwordx2 v[24:25], v26, s[16:17] offset:16
	s_movk_i32 s2, 0x2b26
	s_movk_i32 s5, 0x39e0
	s_mov_b32 s12, 0xb9e0
	s_mov_b32 s3, 0xbb00
	s_mov_b32 s4, 0xbcab
	s_mov_b32 s13, 0xb574
	s_waitcnt vmcnt(0)
	s_barrier
	v_mul_f16_sdwa v26, v16, v20 dst_sel:DWORD dst_unused:UNUSED_PAD src0_sel:DWORD src1_sel:WORD_1
	v_mul_f16_sdwa v27, v15, v21 dst_sel:DWORD dst_unused:UNUSED_PAD src0_sel:DWORD src1_sel:WORD_1
	;; [unrolled: 1-line block ×10, first 2 shown]
	v_fma_f16 v5, v5, v20, v26
	v_fma_f16 v6, v6, v21, v27
	v_mul_f16_sdwa v26, v18, v25 dst_sel:DWORD dst_unused:UNUSED_PAD src0_sel:DWORD src1_sel:WORD_1
	v_mul_f16_sdwa v27, v4, v25 dst_sel:DWORD dst_unused:UNUSED_PAD src0_sel:DWORD src1_sel:WORD_1
	v_fma_f16 v1, v1, v22, v30
	v_fma_f16 v2, v2, v23, v31
	v_fma_f16 v16, v16, v20, -v28
	v_fma_f16 v15, v15, v21, -v29
	;; [unrolled: 1-line block ×4, first 2 shown]
	v_fma_f16 v3, v3, v24, v34
	v_fma_f16 v19, v19, v24, -v35
	v_fma_f16 v4, v4, v25, v26
	v_fma_f16 v18, v18, v25, -v27
	v_add_f16_e32 v20, v5, v4
	v_add_f16_e32 v21, v16, v18
	v_sub_f16_e32 v4, v5, v4
	v_sub_f16_e32 v5, v16, v18
	v_add_f16_e32 v16, v6, v3
	v_add_f16_e32 v18, v15, v19
	v_sub_f16_e32 v3, v6, v3
	v_sub_f16_e32 v6, v15, v19
	;; [unrolled: 4-line block ×4, first 2 shown]
	v_sub_f16_e32 v20, v20, v15
	v_sub_f16_e32 v21, v21, v19
	;; [unrolled: 1-line block ×4, first 2 shown]
	v_add_f16_e32 v24, v1, v3
	v_add_f16_e32 v25, v2, v6
	v_sub_f16_e32 v26, v1, v3
	v_sub_f16_e32 v27, v2, v6
	;; [unrolled: 1-line block ×4, first 2 shown]
	v_add_f16_e32 v15, v15, v11
	v_add_f16_e32 v17, v19, v17
	v_mul_f16_e32 v11, 0x3a52, v20
	v_mul_f16_e32 v19, 0x3a52, v21
	;; [unrolled: 1-line block ×3, first 2 shown]
	v_sub_f16_e32 v1, v4, v1
	v_sub_f16_e32 v2, v5, v2
	v_add_f16_e32 v4, v24, v4
	v_add_f16_e32 v5, v25, v5
	v_mul_f16_e32 v21, 0x2b26, v18
	v_mul_f16_e32 v24, 0x3846, v26
	;; [unrolled: 1-line block ×5, first 2 shown]
	v_fma_f16 v16, v16, s2, v11
	v_fma_f16 v20, v22, s5, -v20
	v_fma_f16 v22, v22, s12, -v11
	v_add_f16_e32 v11, v12, v15
	v_add_f16_sdwa v12, v12, v17 dst_sel:DWORD dst_unused:UNUSED_PAD src0_sel:WORD_1 src1_sel:DWORD
	v_fma_f16 v18, v18, s2, v19
	s_movk_i32 s2, 0x3574
	v_fma_f16 v21, v23, s5, -v21
	v_fma_f16 v19, v23, s12, -v19
	v_fma_f16 v23, v1, s13, v24
	v_fma_f16 v3, v3, s3, -v24
	v_fma_f16 v24, v2, s13, v25
	;; [unrolled: 2-line block ×3, first 2 shown]
	v_fma_f16 v17, v17, s4, v12
	v_fma_f16 v1, v1, s2, -v26
	v_fma_f16 v2, v2, s2, -v27
	s_mov_b32 s2, 0xb70e
	v_add_f16_e32 v25, v16, v15
	v_add_f16_e32 v26, v18, v17
	;; [unrolled: 1-line block ×6, first 2 shown]
	v_fma_f16 v23, v4, s2, v23
	v_fma_f16 v24, v5, s2, v24
	;; [unrolled: 1-line block ×6, first 2 shown]
	v_add_f16_e32 v1, v24, v25
	v_sub_f16_e32 v15, v26, v23
	v_add_f16_e32 v2, v5, v22
	v_sub_f16_e32 v16, v19, v27
	v_sub_f16_e32 v3, v20, v6
	v_add_f16_e32 v18, v17, v21
	v_add_f16_e32 v4, v6, v20
	v_sub_f16_e32 v17, v21, v17
	v_sub_f16_e32 v5, v22, v5
	v_add_f16_e32 v19, v27, v19
	v_sub_f16_e32 v6, v25, v24
	v_add_f16_e32 v20, v23, v26
	s_and_saveexec_b64 s[2:3], vcc
	s_cbranch_execz .LBB0_35
; %bb.34:
	s_movk_i32 s4, 0xa8
	v_mov_b32_e32 v21, 2
	v_mad_u32_u24 v13, v13, s4, 0
	v_lshlrev_b32_sdwa v14, v21, v14 dst_sel:DWORD dst_unused:UNUSED_PAD src0_sel:DWORD src1_sel:BYTE_0
	s_mov_b32 s4, 0x5040100
	v_add3_u32 v10, v13, v14, v10
	v_perm_b32 v13, v12, v11, s4
	v_perm_b32 v14, v15, v1, s4
	ds_write2_b32 v10, v13, v14 offset1:6
	v_perm_b32 v13, v16, v2, s4
	v_perm_b32 v14, v18, v3, s4
	ds_write2_b32 v10, v13, v14 offset0:12 offset1:18
	v_perm_b32 v13, v17, v4, s4
	v_perm_b32 v14, v19, v5, s4
	ds_write2_b32 v10, v13, v14 offset0:24 offset1:30
	v_perm_b32 v13, v20, v6, s4
	ds_write_b32 v10, v13 offset:144
.LBB0_35:
	s_or_b64 exec, exec, s[2:3]
	v_cmp_gt_u16_e32 vcc, 42, v8
	s_waitcnt lgkmcnt(0)
	s_barrier
	s_waitcnt lgkmcnt(0)
                                        ; implicit-def: $vgpr13
                                        ; implicit-def: $vgpr10
	s_and_saveexec_b64 s[2:3], vcc
	s_cbranch_execz .LBB0_37
; %bb.36:
	ds_read_b32 v11, v7
	ds_read2_b32 v[1:2], v9 offset0:42 offset1:84
	ds_read2_b32 v[3:4], v9 offset0:126 offset1:168
	;; [unrolled: 1-line block ×3, first 2 shown]
	ds_read_b32 v10, v9 offset:1176
	s_waitcnt lgkmcnt(4)
	v_lshrrev_b32_e32 v12, 16, v11
	s_waitcnt lgkmcnt(3)
	v_lshrrev_b32_e32 v15, 16, v1
	v_lshrrev_b32_e32 v16, 16, v2
	s_waitcnt lgkmcnt(2)
	v_lshrrev_b32_e32 v18, 16, v3
	;; [unrolled: 3-line block ×4, first 2 shown]
.LBB0_37:
	s_or_b64 exec, exec, s[2:3]
	s_barrier
	s_and_saveexec_b64 s[2:3], vcc
	s_cbranch_execz .LBB0_39
; %bb.38:
	v_subrev_u32_e32 v14, 42, v8
	v_cndmask_b32_e32 v8, v14, v8, vcc
	v_mul_i32_i24_e32 v21, 7, v8
	v_mov_b32_e32 v22, 0
	v_lshlrev_b64 v[21:22], 2, v[21:22]
	v_mov_b32_e32 v8, s17
	v_add_co_u32_e32 v28, vcc, s16, v21
	v_addc_co_u32_e32 v29, vcc, v8, v22, vcc
	global_load_dwordx4 v[21:24], v[28:29], off offset:144
	global_load_dwordx3 v[25:27], v[28:29], off offset:160
	s_movk_i32 s4, 0x39a8
	s_mov_b32 s5, 0xb9a8
	s_waitcnt vmcnt(1)
	v_mul_f16_sdwa v14, v15, v21 dst_sel:DWORD dst_unused:UNUSED_PAD src0_sel:DWORD src1_sel:WORD_1
	v_mul_f16_sdwa v28, v16, v22 dst_sel:DWORD dst_unused:UNUSED_PAD src0_sel:DWORD src1_sel:WORD_1
	;; [unrolled: 1-line block ×8, first 2 shown]
	s_waitcnt vmcnt(0)
	v_mul_f16_sdwa v34, v6, v26 dst_sel:DWORD dst_unused:UNUSED_PAD src0_sel:DWORD src1_sel:WORD_1
	v_mul_f16_sdwa v35, v13, v27 dst_sel:DWORD dst_unused:UNUSED_PAD src0_sel:DWORD src1_sel:WORD_1
	;; [unrolled: 1-line block ×3, first 2 shown]
	v_fma_f16 v1, v1, v21, v14
	v_fma_f16 v2, v2, v22, v28
	v_mul_f16_sdwa v14, v5, v25 dst_sel:DWORD dst_unused:UNUSED_PAD src0_sel:DWORD src1_sel:WORD_1
	v_mul_f16_sdwa v28, v19, v25 dst_sel:DWORD dst_unused:UNUSED_PAD src0_sel:DWORD src1_sel:WORD_1
	v_fma_f16 v4, v4, v24, v30
	v_mul_f16_sdwa v30, v20, v26 dst_sel:DWORD dst_unused:UNUSED_PAD src0_sel:DWORD src1_sel:WORD_1
	v_fma_f16 v3, v3, v23, v31
	v_fma_f16 v8, v16, v22, -v8
	v_fma_f16 v15, v15, v21, -v29
	;; [unrolled: 1-line block ×3, first 2 shown]
	v_fma_f16 v10, v10, v27, v35
	v_fma_f16 v13, v13, v27, -v36
	v_fma_f16 v14, v19, v25, -v14
	;; [unrolled: 1-line block ×3, first 2 shown]
	v_fma_f16 v5, v5, v25, v28
	v_fma_f16 v17, v17, v24, -v33
	v_fma_f16 v6, v6, v26, v30
	v_sub_f16_e32 v4, v11, v4
	v_sub_f16_e32 v18, v8, v18
	;; [unrolled: 1-line block ×8, first 2 shown]
	v_add_f16_e32 v21, v5, v13
	v_sub_f16_e32 v22, v17, v6
	v_fma_f16 v11, v11, 2.0, -v4
	v_fma_f16 v2, v2, 2.0, -v6
	;; [unrolled: 1-line block ×8, first 2 shown]
	v_add_f16_e32 v19, v4, v18
	v_sub_f16_e32 v20, v14, v10
	v_sub_f16_e32 v2, v11, v2
	;; [unrolled: 1-line block ×5, first 2 shown]
	v_fma_f16 v10, v21, s4, v19
	v_fma_f16 v15, v20, s4, v22
	v_fma_f16 v4, v4, 2.0, -v19
	v_fma_f16 v14, v14, 2.0, -v20
	v_fma_f16 v5, v5, 2.0, -v21
	v_fma_f16 v16, v17, 2.0, -v22
	v_sub_f16_e32 v18, v8, v3
	v_fma_f16 v11, v11, 2.0, -v2
	v_fma_f16 v1, v1, 2.0, -v3
	v_fma_f16 v3, v12, 2.0, -v8
	v_fma_f16 v6, v6, 2.0, -v13
	v_fma_f16 v10, v20, s4, v10
	v_fma_f16 v15, v21, s5, v15
	;; [unrolled: 1-line block ×4, first 2 shown]
	v_sub_f16_e32 v1, v11, v1
	v_sub_f16_e32 v6, v3, v6
	v_add_f16_e32 v17, v2, v13
	v_fma_f16 v14, v14, s4, v20
	v_fma_f16 v5, v5, s5, v21
	v_fma_f16 v11, v11, 2.0, -v1
	v_fma_f16 v3, v3, 2.0, -v6
	;; [unrolled: 1-line block ×6, first 2 shown]
	v_pack_b32_f16 v3, v11, v3
	v_fma_f16 v12, v19, 2.0, -v10
	v_fma_f16 v13, v22, 2.0, -v15
	ds_write_b32 v7, v3
	v_pack_b32_f16 v3, v4, v16
	v_pack_b32_f16 v2, v2, v8
	ds_write2_b32 v9, v3, v2 offset0:42 offset1:84
	v_pack_b32_f16 v2, v12, v13
	v_pack_b32_f16 v1, v1, v6
	ds_write2_b32 v9, v2, v1 offset0:126 offset1:168
	;; [unrolled: 3-line block ×3, first 2 shown]
	v_pack_b32_f16 v1, v10, v15
	ds_write_b32 v9, v1 offset:1176
.LBB0_39:
	s_or_b64 exec, exec, s[2:3]
	s_movk_i32 s4, 0x187
	s_mul_i32 s2, s7, s26
	s_mul_hi_u32 s3, s6, s26
	v_mul_u32_u24_sdwa v1, v0, s4 dst_sel:DWORD dst_unused:UNUSED_PAD src0_sel:WORD_0 src1_sel:DWORD
	s_add_i32 s3, s3, s2
	s_mul_i32 s2, s6, s26
	v_lshrrev_b32_e32 v2, 17, v1
	s_add_u32 s2, s2, s48
	v_mul_lo_u16_e32 v1, 0x150, v2
	s_addc_u32 s3, s3, s47
	v_sub_u16_e32 v3, v0, v1
	s_mov_b64 s[4:5], -1
	s_and_b64 vcc, exec, s[0:1]
	s_waitcnt lgkmcnt(0)
	s_barrier
	s_cbranch_vccz .LBB0_41
; %bb.40:
	v_mad_u64_u32 v[0:1], s[0:1], s8, v3, 0
	v_mul_lo_u32 v5, s11, v2
	v_mul_lo_u32 v4, s10, v2
	v_mad_u64_u32 v[6:7], s[0:1], s9, v3, v[1:2]
	s_lshl_b64 s[0:1], s[2:3], 2
	s_add_u32 s0, s14, s0
	v_mov_b32_e32 v1, v6
	v_lshlrev_b64 v[0:1], 2, v[0:1]
	v_mul_u32_u24_e32 v7, 0x544, v2
	v_lshlrev_b32_e32 v8, 2, v3
	s_addc_u32 s1, s15, s1
	v_add3_u32 v7, 0, v7, v8
	v_mov_b32_e32 v6, s1
	v_add_co_u32_e32 v8, vcc, s0, v0
	v_addc_co_u32_e32 v9, vcc, v6, v1, vcc
	v_add_u32_e32 v6, 1, v2
	v_lshlrev_b64 v[0:1], 2, v[4:5]
	v_mad_u64_u32 v[4:5], s[0:1], s10, v6, 0
	v_add_co_u32_e32 v0, vcc, v8, v0
	v_mad_u64_u32 v[5:6], s[0:1], s11, v6, v[5:6]
	v_addc_co_u32_e32 v1, vcc, v9, v1, vcc
	ds_read_b32 v6, v7
	ds_read_b32 v10, v7 offset:1348
	ds_read_b32 v11, v7 offset:2696
	;; [unrolled: 1-line block ×5, first 2 shown]
	s_waitcnt lgkmcnt(5)
	global_store_dword v[0:1], v6, off
	v_or_b32_e32 v6, 2, v2
	v_lshlrev_b64 v[0:1], 2, v[4:5]
	v_mad_u64_u32 v[4:5], s[0:1], s10, v6, 0
	v_add_u32_e32 v15, 3, v2
	v_add_co_u32_e32 v0, vcc, v8, v0
	v_mad_u64_u32 v[5:6], s[0:1], s11, v6, v[5:6]
	v_mad_u64_u32 v[6:7], s[0:1], s10, v15, 0
	v_addc_co_u32_e32 v1, vcc, v9, v1, vcc
	s_waitcnt lgkmcnt(4)
	global_store_dword v[0:1], v10, off
	v_lshlrev_b64 v[0:1], 2, v[4:5]
	v_mov_b32_e32 v4, v7
	v_mad_u64_u32 v[4:5], s[0:1], s11, v15, v[4:5]
	v_add_co_u32_e32 v0, vcc, v8, v0
	v_addc_co_u32_e32 v1, vcc, v9, v1, vcc
	v_mov_b32_e32 v7, v4
	s_waitcnt lgkmcnt(3)
	global_store_dword v[0:1], v11, off
	v_lshlrev_b64 v[0:1], 2, v[6:7]
	v_or_b32_e32 v6, 4, v2
	v_mad_u64_u32 v[4:5], s[0:1], s10, v6, 0
	v_add_u32_e32 v10, 5, v2
	v_add_co_u32_e32 v0, vcc, v8, v0
	v_mad_u64_u32 v[5:6], s[0:1], s11, v6, v[5:6]
	v_mad_u64_u32 v[6:7], s[0:1], s10, v10, 0
	v_addc_co_u32_e32 v1, vcc, v9, v1, vcc
	s_waitcnt lgkmcnt(2)
	global_store_dword v[0:1], v12, off
	v_lshlrev_b64 v[0:1], 2, v[4:5]
	v_mov_b32_e32 v4, v7
	v_mad_u64_u32 v[4:5], s[0:1], s11, v10, v[4:5]
	v_add_co_u32_e32 v0, vcc, v8, v0
	v_addc_co_u32_e32 v1, vcc, v9, v1, vcc
	v_mov_b32_e32 v7, v4
	s_waitcnt lgkmcnt(1)
	global_store_dword v[0:1], v13, off
	v_lshlrev_b64 v[0:1], 2, v[6:7]
	s_mov_b64 s[4:5], 0
	v_add_co_u32_e32 v0, vcc, v8, v0
	v_addc_co_u32_e32 v1, vcc, v9, v1, vcc
	s_waitcnt lgkmcnt(0)
	global_store_dword v[0:1], v14, off
.LBB0_41:
	s_andn2_b64 vcc, exec, s[4:5]
	s_cbranch_vccnz .LBB0_45
; %bb.42:
	v_mov_b32_e32 v1, s33
	v_add_co_u32_e32 v0, vcc, s46, v2
	v_addc_co_u32_e32 v1, vcc, 0, v1, vcc
	v_cmp_gt_u64_e32 vcc, s[24:25], v[0:1]
	s_and_saveexec_b64 s[0:1], vcc
	s_cbranch_execz .LBB0_45
; %bb.43:
	v_mad_u64_u32 v[4:5], s[0:1], s8, v3, 0
	s_lshl_b64 s[0:1], s[2:3], 2
	s_add_u32 s0, s14, s0
	v_mad_u64_u32 v[5:6], s[2:3], s9, v3, v[5:6]
	s_addc_u32 s1, s15, s1
	v_mov_b32_e32 v6, s1
	v_lshlrev_b64 v[4:5], 2, v[4:5]
	v_lshlrev_b32_e32 v3, 2, v3
	v_add_co_u32_e32 v4, vcc, s0, v4
	v_addc_co_u32_e32 v5, vcc, v6, v5, vcc
	v_mul_u32_u24_e32 v6, 0x544, v2
	s_mov_b32 s2, 0
	v_add3_u32 v3, v6, v3, 0
	s_mov_b64 s[0:1], 0
.LBB0_44:                               ; =>This Inner Loop Header: Depth=1
	v_add_u32_e32 v10, s2, v2
	v_mad_u64_u32 v[6:7], s[4:5], s10, v10, 0
	s_add_i32 s2, s2, 1
	v_add_co_u32_e32 v8, vcc, s2, v0
	v_addc_co_u32_e32 v9, vcc, 0, v1, vcc
	v_cmp_le_u64_e32 vcc, s[24:25], v[8:9]
	v_mad_u64_u32 v[7:8], s[4:5], s11, v10, v[7:8]
	ds_read_b32 v11, v3
	s_or_b64 s[0:1], vcc, s[0:1]
	v_lshlrev_b64 v[6:7], 2, v[6:7]
	v_add_u32_e32 v3, 0x544, v3
	v_add_co_u32_e32 v6, vcc, v4, v6
	v_addc_co_u32_e32 v7, vcc, v5, v7, vcc
	s_waitcnt lgkmcnt(0)
	global_store_dword v[6:7], v11, off
	s_andn2_b64 exec, exec, s[0:1]
	s_cbranch_execnz .LBB0_44
.LBB0_45:
	s_endpgm
.LBB0_46:
                                        ; implicit-def: $vgpr4_vgpr5
	s_branch .LBB0_20
	.section	.rodata,"a",@progbits
	.p2align	6, 0x0
	.amdhsa_kernel fft_rtc_back_len336_factors_6_7_8_wgs_336_tpt_56_half_op_CI_CI_sbcr_C2R_dirReg_intrinsicReadWrite
		.amdhsa_group_segment_fixed_size 0
		.amdhsa_private_segment_fixed_size 0
		.amdhsa_kernarg_size 104
		.amdhsa_user_sgpr_count 6
		.amdhsa_user_sgpr_private_segment_buffer 1
		.amdhsa_user_sgpr_dispatch_ptr 0
		.amdhsa_user_sgpr_queue_ptr 0
		.amdhsa_user_sgpr_kernarg_segment_ptr 1
		.amdhsa_user_sgpr_dispatch_id 0
		.amdhsa_user_sgpr_flat_scratch_init 0
		.amdhsa_user_sgpr_private_segment_size 0
		.amdhsa_uses_dynamic_stack 0
		.amdhsa_system_sgpr_private_segment_wavefront_offset 0
		.amdhsa_system_sgpr_workgroup_id_x 1
		.amdhsa_system_sgpr_workgroup_id_y 0
		.amdhsa_system_sgpr_workgroup_id_z 0
		.amdhsa_system_sgpr_workgroup_info 0
		.amdhsa_system_vgpr_workitem_id 0
		.amdhsa_next_free_vgpr 37
		.amdhsa_next_free_sgpr 55
		.amdhsa_reserve_vcc 1
		.amdhsa_reserve_flat_scratch 0
		.amdhsa_float_round_mode_32 0
		.amdhsa_float_round_mode_16_64 0
		.amdhsa_float_denorm_mode_32 3
		.amdhsa_float_denorm_mode_16_64 3
		.amdhsa_dx10_clamp 1
		.amdhsa_ieee_mode 1
		.amdhsa_fp16_overflow 0
		.amdhsa_exception_fp_ieee_invalid_op 0
		.amdhsa_exception_fp_denorm_src 0
		.amdhsa_exception_fp_ieee_div_zero 0
		.amdhsa_exception_fp_ieee_overflow 0
		.amdhsa_exception_fp_ieee_underflow 0
		.amdhsa_exception_fp_ieee_inexact 0
		.amdhsa_exception_int_div_zero 0
	.end_amdhsa_kernel
	.text
.Lfunc_end0:
	.size	fft_rtc_back_len336_factors_6_7_8_wgs_336_tpt_56_half_op_CI_CI_sbcr_C2R_dirReg_intrinsicReadWrite, .Lfunc_end0-fft_rtc_back_len336_factors_6_7_8_wgs_336_tpt_56_half_op_CI_CI_sbcr_C2R_dirReg_intrinsicReadWrite
                                        ; -- End function
	.section	.AMDGPU.csdata,"",@progbits
; Kernel info:
; codeLenInByte = 7228
; NumSgprs: 59
; NumVgprs: 37
; ScratchSize: 0
; MemoryBound: 0
; FloatMode: 240
; IeeeMode: 1
; LDSByteSize: 0 bytes/workgroup (compile time only)
; SGPRBlocks: 7
; VGPRBlocks: 9
; NumSGPRsForWavesPerEU: 59
; NumVGPRsForWavesPerEU: 37
; Occupancy: 6
; WaveLimiterHint : 1
; COMPUTE_PGM_RSRC2:SCRATCH_EN: 0
; COMPUTE_PGM_RSRC2:USER_SGPR: 6
; COMPUTE_PGM_RSRC2:TRAP_HANDLER: 0
; COMPUTE_PGM_RSRC2:TGID_X_EN: 1
; COMPUTE_PGM_RSRC2:TGID_Y_EN: 0
; COMPUTE_PGM_RSRC2:TGID_Z_EN: 0
; COMPUTE_PGM_RSRC2:TIDIG_COMP_CNT: 0
	.type	__hip_cuid_32c6efc9089147ec,@object ; @__hip_cuid_32c6efc9089147ec
	.section	.bss,"aw",@nobits
	.globl	__hip_cuid_32c6efc9089147ec
__hip_cuid_32c6efc9089147ec:
	.byte	0                               ; 0x0
	.size	__hip_cuid_32c6efc9089147ec, 1

	.ident	"AMD clang version 19.0.0git (https://github.com/RadeonOpenCompute/llvm-project roc-6.4.0 25133 c7fe45cf4b819c5991fe208aaa96edf142730f1d)"
	.section	".note.GNU-stack","",@progbits
	.addrsig
	.addrsig_sym __hip_cuid_32c6efc9089147ec
	.amdgpu_metadata
---
amdhsa.kernels:
  - .args:
      - .actual_access:  read_only
        .address_space:  global
        .offset:         0
        .size:           8
        .value_kind:     global_buffer
      - .offset:         8
        .size:           8
        .value_kind:     by_value
      - .actual_access:  read_only
        .address_space:  global
        .offset:         16
        .size:           8
        .value_kind:     global_buffer
      - .actual_access:  read_only
        .address_space:  global
        .offset:         24
        .size:           8
        .value_kind:     global_buffer
      - .actual_access:  read_only
        .address_space:  global
        .offset:         32
        .size:           8
        .value_kind:     global_buffer
      - .offset:         40
        .size:           8
        .value_kind:     by_value
      - .actual_access:  read_only
        .address_space:  global
        .offset:         48
        .size:           8
        .value_kind:     global_buffer
      - .actual_access:  read_only
        .address_space:  global
        .offset:         56
        .size:           8
        .value_kind:     global_buffer
      - .offset:         64
        .size:           4
        .value_kind:     by_value
      - .actual_access:  read_only
        .address_space:  global
        .offset:         72
        .size:           8
        .value_kind:     global_buffer
      - .actual_access:  read_only
        .address_space:  global
        .offset:         80
        .size:           8
        .value_kind:     global_buffer
      - .actual_access:  read_only
        .address_space:  global
        .offset:         88
        .size:           8
        .value_kind:     global_buffer
      - .actual_access:  write_only
        .address_space:  global
        .offset:         96
        .size:           8
        .value_kind:     global_buffer
    .group_segment_fixed_size: 0
    .kernarg_segment_align: 8
    .kernarg_segment_size: 104
    .language:       OpenCL C
    .language_version:
      - 2
      - 0
    .max_flat_workgroup_size: 336
    .name:           fft_rtc_back_len336_factors_6_7_8_wgs_336_tpt_56_half_op_CI_CI_sbcr_C2R_dirReg_intrinsicReadWrite
    .private_segment_fixed_size: 0
    .sgpr_count:     59
    .sgpr_spill_count: 0
    .symbol:         fft_rtc_back_len336_factors_6_7_8_wgs_336_tpt_56_half_op_CI_CI_sbcr_C2R_dirReg_intrinsicReadWrite.kd
    .uniform_work_group_size: 1
    .uses_dynamic_stack: false
    .vgpr_count:     37
    .vgpr_spill_count: 0
    .wavefront_size: 64
amdhsa.target:   amdgcn-amd-amdhsa--gfx906
amdhsa.version:
  - 1
  - 2
...

	.end_amdgpu_metadata
